;; amdgpu-corpus repo=ROCm/rocFFT kind=compiled arch=gfx1201 opt=O3
	.text
	.amdgcn_target "amdgcn-amd-amdhsa--gfx1201"
	.amdhsa_code_object_version 6
	.protected	fft_rtc_back_len1210_factors_2_5_11_11_wgs_110_tpt_110_halfLds_half_op_CI_CI_unitstride_sbrr_R2C_dirReg ; -- Begin function fft_rtc_back_len1210_factors_2_5_11_11_wgs_110_tpt_110_halfLds_half_op_CI_CI_unitstride_sbrr_R2C_dirReg
	.globl	fft_rtc_back_len1210_factors_2_5_11_11_wgs_110_tpt_110_halfLds_half_op_CI_CI_unitstride_sbrr_R2C_dirReg
	.p2align	8
	.type	fft_rtc_back_len1210_factors_2_5_11_11_wgs_110_tpt_110_halfLds_half_op_CI_CI_unitstride_sbrr_R2C_dirReg,@function
fft_rtc_back_len1210_factors_2_5_11_11_wgs_110_tpt_110_halfLds_half_op_CI_CI_unitstride_sbrr_R2C_dirReg: ; @fft_rtc_back_len1210_factors_2_5_11_11_wgs_110_tpt_110_halfLds_half_op_CI_CI_unitstride_sbrr_R2C_dirReg
; %bb.0:
	s_clause 0x2
	s_load_b128 s[8:11], s[0:1], 0x0
	s_load_b128 s[4:7], s[0:1], 0x58
	;; [unrolled: 1-line block ×3, first 2 shown]
	v_mul_u32_u24_e32 v1, 0x254, v0
	v_mov_b32_e32 v3, 0
	s_delay_alu instid0(VALU_DEP_2) | instskip(NEXT) | instid1(VALU_DEP_1)
	v_lshrrev_b32_e32 v1, 16, v1
	v_add_nc_u32_e32 v5, ttmp9, v1
	v_mov_b32_e32 v1, 0
	v_mov_b32_e32 v2, 0
	;; [unrolled: 1-line block ×3, first 2 shown]
	s_wait_kmcnt 0x0
	v_cmp_lt_u64_e64 s2, s[10:11], 2
	s_delay_alu instid0(VALU_DEP_1)
	s_and_b32 vcc_lo, exec_lo, s2
	s_cbranch_vccnz .LBB0_8
; %bb.1:
	s_load_b64 s[2:3], s[0:1], 0x10
	v_mov_b32_e32 v1, 0
	v_mov_b32_e32 v2, 0
	s_add_nc_u64 s[16:17], s[14:15], 8
	s_add_nc_u64 s[18:19], s[12:13], 8
	s_mov_b64 s[20:21], 1
	s_delay_alu instid0(VALU_DEP_1)
	v_dual_mov_b32 v9, v2 :: v_dual_mov_b32 v8, v1
	s_wait_kmcnt 0x0
	s_add_nc_u64 s[22:23], s[2:3], 8
	s_mov_b32 s3, 0
.LBB0_2:                                ; =>This Inner Loop Header: Depth=1
	s_load_b64 s[24:25], s[22:23], 0x0
                                        ; implicit-def: $vgpr12_vgpr13
	s_mov_b32 s2, exec_lo
	s_wait_kmcnt 0x0
	v_or_b32_e32 v4, s25, v6
	s_delay_alu instid0(VALU_DEP_1)
	v_cmpx_ne_u64_e32 0, v[3:4]
	s_wait_alu 0xfffe
	s_xor_b32 s26, exec_lo, s2
	s_cbranch_execz .LBB0_4
; %bb.3:                                ;   in Loop: Header=BB0_2 Depth=1
	s_cvt_f32_u32 s2, s24
	s_cvt_f32_u32 s27, s25
	s_sub_nc_u64 s[30:31], 0, s[24:25]
	s_wait_alu 0xfffe
	s_delay_alu instid0(SALU_CYCLE_1) | instskip(SKIP_1) | instid1(SALU_CYCLE_2)
	s_fmamk_f32 s2, s27, 0x4f800000, s2
	s_wait_alu 0xfffe
	v_s_rcp_f32 s2, s2
	s_delay_alu instid0(TRANS32_DEP_1) | instskip(SKIP_1) | instid1(SALU_CYCLE_2)
	s_mul_f32 s2, s2, 0x5f7ffffc
	s_wait_alu 0xfffe
	s_mul_f32 s27, s2, 0x2f800000
	s_wait_alu 0xfffe
	s_delay_alu instid0(SALU_CYCLE_2) | instskip(SKIP_1) | instid1(SALU_CYCLE_2)
	s_trunc_f32 s27, s27
	s_wait_alu 0xfffe
	s_fmamk_f32 s2, s27, 0xcf800000, s2
	s_cvt_u32_f32 s29, s27
	s_wait_alu 0xfffe
	s_delay_alu instid0(SALU_CYCLE_1) | instskip(SKIP_1) | instid1(SALU_CYCLE_2)
	s_cvt_u32_f32 s28, s2
	s_wait_alu 0xfffe
	s_mul_u64 s[34:35], s[30:31], s[28:29]
	s_wait_alu 0xfffe
	s_mul_hi_u32 s37, s28, s35
	s_mul_i32 s36, s28, s35
	s_mul_hi_u32 s2, s28, s34
	s_mul_i32 s33, s29, s34
	s_wait_alu 0xfffe
	s_add_nc_u64 s[36:37], s[2:3], s[36:37]
	s_mul_hi_u32 s27, s29, s34
	s_mul_hi_u32 s38, s29, s35
	s_add_co_u32 s2, s36, s33
	s_wait_alu 0xfffe
	s_add_co_ci_u32 s2, s37, s27
	s_mul_i32 s34, s29, s35
	s_add_co_ci_u32 s35, s38, 0
	s_wait_alu 0xfffe
	s_add_nc_u64 s[34:35], s[2:3], s[34:35]
	s_wait_alu 0xfffe
	v_add_co_u32 v4, s2, s28, s34
	s_delay_alu instid0(VALU_DEP_1) | instskip(SKIP_1) | instid1(VALU_DEP_1)
	s_cmp_lg_u32 s2, 0
	s_add_co_ci_u32 s29, s29, s35
	v_readfirstlane_b32 s28, v4
	s_wait_alu 0xfffe
	s_delay_alu instid0(VALU_DEP_1)
	s_mul_u64 s[30:31], s[30:31], s[28:29]
	s_wait_alu 0xfffe
	s_mul_hi_u32 s35, s28, s31
	s_mul_i32 s34, s28, s31
	s_mul_hi_u32 s2, s28, s30
	s_mul_i32 s33, s29, s30
	s_wait_alu 0xfffe
	s_add_nc_u64 s[34:35], s[2:3], s[34:35]
	s_mul_hi_u32 s27, s29, s30
	s_mul_hi_u32 s28, s29, s31
	s_wait_alu 0xfffe
	s_add_co_u32 s2, s34, s33
	s_add_co_ci_u32 s2, s35, s27
	s_mul_i32 s30, s29, s31
	s_add_co_ci_u32 s31, s28, 0
	s_wait_alu 0xfffe
	s_add_nc_u64 s[30:31], s[2:3], s[30:31]
	s_wait_alu 0xfffe
	v_add_co_u32 v4, s2, v4, s30
	s_delay_alu instid0(VALU_DEP_1) | instskip(SKIP_1) | instid1(VALU_DEP_1)
	s_cmp_lg_u32 s2, 0
	s_add_co_ci_u32 s2, s29, s31
	v_mul_hi_u32 v7, v5, v4
	s_wait_alu 0xfffe
	v_mad_co_u64_u32 v[10:11], null, v5, s2, 0
	v_mad_co_u64_u32 v[12:13], null, v6, v4, 0
	;; [unrolled: 1-line block ×3, first 2 shown]
	s_delay_alu instid0(VALU_DEP_3) | instskip(SKIP_1) | instid1(VALU_DEP_4)
	v_add_co_u32 v4, vcc_lo, v7, v10
	s_wait_alu 0xfffd
	v_add_co_ci_u32_e32 v7, vcc_lo, 0, v11, vcc_lo
	s_delay_alu instid0(VALU_DEP_2) | instskip(SKIP_1) | instid1(VALU_DEP_2)
	v_add_co_u32 v4, vcc_lo, v4, v12
	s_wait_alu 0xfffd
	v_add_co_ci_u32_e32 v4, vcc_lo, v7, v13, vcc_lo
	s_wait_alu 0xfffd
	v_add_co_ci_u32_e32 v7, vcc_lo, 0, v15, vcc_lo
	s_delay_alu instid0(VALU_DEP_2) | instskip(SKIP_1) | instid1(VALU_DEP_2)
	v_add_co_u32 v4, vcc_lo, v4, v14
	s_wait_alu 0xfffd
	v_add_co_ci_u32_e32 v7, vcc_lo, 0, v7, vcc_lo
	s_delay_alu instid0(VALU_DEP_2) | instskip(SKIP_1) | instid1(VALU_DEP_3)
	v_mul_lo_u32 v12, s25, v4
	v_mad_co_u64_u32 v[10:11], null, s24, v4, 0
	v_mul_lo_u32 v13, s24, v7
	s_delay_alu instid0(VALU_DEP_2) | instskip(NEXT) | instid1(VALU_DEP_2)
	v_sub_co_u32 v10, vcc_lo, v5, v10
	v_add3_u32 v11, v11, v13, v12
	s_delay_alu instid0(VALU_DEP_1) | instskip(SKIP_1) | instid1(VALU_DEP_1)
	v_sub_nc_u32_e32 v12, v6, v11
	s_wait_alu 0xfffd
	v_subrev_co_ci_u32_e64 v12, s2, s25, v12, vcc_lo
	v_add_co_u32 v13, s2, v4, 2
	s_wait_alu 0xf1ff
	v_add_co_ci_u32_e64 v14, s2, 0, v7, s2
	v_sub_co_u32 v15, s2, v10, s24
	v_sub_co_ci_u32_e32 v11, vcc_lo, v6, v11, vcc_lo
	s_wait_alu 0xf1ff
	v_subrev_co_ci_u32_e64 v12, s2, 0, v12, s2
	s_delay_alu instid0(VALU_DEP_3) | instskip(NEXT) | instid1(VALU_DEP_3)
	v_cmp_le_u32_e32 vcc_lo, s24, v15
	v_cmp_eq_u32_e64 s2, s25, v11
	s_wait_alu 0xfffd
	v_cndmask_b32_e64 v15, 0, -1, vcc_lo
	v_cmp_le_u32_e32 vcc_lo, s25, v12
	s_wait_alu 0xfffd
	v_cndmask_b32_e64 v16, 0, -1, vcc_lo
	v_cmp_le_u32_e32 vcc_lo, s24, v10
	;; [unrolled: 3-line block ×3, first 2 shown]
	s_wait_alu 0xfffd
	v_cndmask_b32_e64 v17, 0, -1, vcc_lo
	v_cmp_eq_u32_e32 vcc_lo, s25, v12
	s_wait_alu 0xf1ff
	s_delay_alu instid0(VALU_DEP_2)
	v_cndmask_b32_e64 v10, v17, v10, s2
	s_wait_alu 0xfffd
	v_cndmask_b32_e32 v12, v16, v15, vcc_lo
	v_add_co_u32 v15, vcc_lo, v4, 1
	s_wait_alu 0xfffd
	v_add_co_ci_u32_e32 v16, vcc_lo, 0, v7, vcc_lo
	s_delay_alu instid0(VALU_DEP_3) | instskip(SKIP_1) | instid1(VALU_DEP_2)
	v_cmp_ne_u32_e32 vcc_lo, 0, v12
	s_wait_alu 0xfffd
	v_dual_cndmask_b32 v11, v16, v14 :: v_dual_cndmask_b32 v12, v15, v13
	v_cmp_ne_u32_e32 vcc_lo, 0, v10
	s_wait_alu 0xfffd
	s_delay_alu instid0(VALU_DEP_2)
	v_dual_cndmask_b32 v13, v7, v11 :: v_dual_cndmask_b32 v12, v4, v12
.LBB0_4:                                ;   in Loop: Header=BB0_2 Depth=1
	s_wait_alu 0xfffe
	s_and_not1_saveexec_b32 s2, s26
	s_cbranch_execz .LBB0_6
; %bb.5:                                ;   in Loop: Header=BB0_2 Depth=1
	v_cvt_f32_u32_e32 v4, s24
	s_sub_co_i32 s26, 0, s24
	v_mov_b32_e32 v13, v3
	s_delay_alu instid0(VALU_DEP_2) | instskip(NEXT) | instid1(TRANS32_DEP_1)
	v_rcp_iflag_f32_e32 v4, v4
	v_mul_f32_e32 v4, 0x4f7ffffe, v4
	s_delay_alu instid0(VALU_DEP_1) | instskip(SKIP_1) | instid1(VALU_DEP_1)
	v_cvt_u32_f32_e32 v4, v4
	s_wait_alu 0xfffe
	v_mul_lo_u32 v7, s26, v4
	s_delay_alu instid0(VALU_DEP_1) | instskip(NEXT) | instid1(VALU_DEP_1)
	v_mul_hi_u32 v7, v4, v7
	v_add_nc_u32_e32 v4, v4, v7
	s_delay_alu instid0(VALU_DEP_1) | instskip(NEXT) | instid1(VALU_DEP_1)
	v_mul_hi_u32 v4, v5, v4
	v_mul_lo_u32 v7, v4, s24
	v_add_nc_u32_e32 v10, 1, v4
	s_delay_alu instid0(VALU_DEP_2) | instskip(NEXT) | instid1(VALU_DEP_1)
	v_sub_nc_u32_e32 v7, v5, v7
	v_subrev_nc_u32_e32 v11, s24, v7
	v_cmp_le_u32_e32 vcc_lo, s24, v7
	s_wait_alu 0xfffd
	s_delay_alu instid0(VALU_DEP_2) | instskip(NEXT) | instid1(VALU_DEP_1)
	v_dual_cndmask_b32 v7, v7, v11 :: v_dual_cndmask_b32 v4, v4, v10
	v_cmp_le_u32_e32 vcc_lo, s24, v7
	s_delay_alu instid0(VALU_DEP_2) | instskip(SKIP_1) | instid1(VALU_DEP_1)
	v_add_nc_u32_e32 v10, 1, v4
	s_wait_alu 0xfffd
	v_cndmask_b32_e32 v12, v4, v10, vcc_lo
.LBB0_6:                                ;   in Loop: Header=BB0_2 Depth=1
	s_wait_alu 0xfffe
	s_or_b32 exec_lo, exec_lo, s2
	v_mul_lo_u32 v4, v13, s24
	s_delay_alu instid0(VALU_DEP_2)
	v_mul_lo_u32 v7, v12, s25
	s_load_b64 s[26:27], s[18:19], 0x0
	v_mad_co_u64_u32 v[10:11], null, v12, s24, 0
	s_load_b64 s[24:25], s[16:17], 0x0
	s_add_nc_u64 s[20:21], s[20:21], 1
	s_add_nc_u64 s[16:17], s[16:17], 8
	s_wait_alu 0xfffe
	v_cmp_ge_u64_e64 s2, s[20:21], s[10:11]
	s_add_nc_u64 s[18:19], s[18:19], 8
	s_add_nc_u64 s[22:23], s[22:23], 8
	v_add3_u32 v4, v11, v7, v4
	v_sub_co_u32 v5, vcc_lo, v5, v10
	s_wait_alu 0xfffd
	s_delay_alu instid0(VALU_DEP_2) | instskip(SKIP_2) | instid1(VALU_DEP_1)
	v_sub_co_ci_u32_e32 v4, vcc_lo, v6, v4, vcc_lo
	s_and_b32 vcc_lo, exec_lo, s2
	s_wait_kmcnt 0x0
	v_mul_lo_u32 v6, s26, v4
	v_mul_lo_u32 v7, s27, v5
	v_mad_co_u64_u32 v[1:2], null, s26, v5, v[1:2]
	v_mul_lo_u32 v4, s24, v4
	v_mul_lo_u32 v10, s25, v5
	v_mad_co_u64_u32 v[8:9], null, s24, v5, v[8:9]
	s_delay_alu instid0(VALU_DEP_4) | instskip(NEXT) | instid1(VALU_DEP_2)
	v_add3_u32 v2, v7, v2, v6
	v_add3_u32 v9, v10, v9, v4
	s_wait_alu 0xfffe
	s_cbranch_vccnz .LBB0_9
; %bb.7:                                ;   in Loop: Header=BB0_2 Depth=1
	v_dual_mov_b32 v5, v12 :: v_dual_mov_b32 v6, v13
	s_branch .LBB0_2
.LBB0_8:
	v_dual_mov_b32 v9, v2 :: v_dual_mov_b32 v8, v1
	v_dual_mov_b32 v13, v6 :: v_dual_mov_b32 v12, v5
.LBB0_9:
	s_load_b64 s[0:1], s[0:1], 0x28
	v_mul_hi_u32 v3, 0x253c826, v0
	s_lshl_b64 s[10:11], s[10:11], 3
                                        ; implicit-def: $vgpr10
                                        ; implicit-def: $vgpr14
                                        ; implicit-def: $vgpr19
                                        ; implicit-def: $vgpr18
                                        ; implicit-def: $vgpr17
                                        ; implicit-def: $vgpr16
	s_wait_kmcnt 0x0
	v_cmp_gt_u64_e32 vcc_lo, s[0:1], v[12:13]
	v_cmp_le_u64_e64 s0, s[0:1], v[12:13]
	s_delay_alu instid0(VALU_DEP_1)
	s_and_saveexec_b32 s1, s0
	s_wait_alu 0xfffe
	s_xor_b32 s0, exec_lo, s1
; %bb.10:
	v_mul_u32_u24_e32 v1, 0x6e, v3
                                        ; implicit-def: $vgpr3
	s_delay_alu instid0(VALU_DEP_1) | instskip(NEXT) | instid1(VALU_DEP_1)
	v_sub_nc_u32_e32 v10, v0, v1
                                        ; implicit-def: $vgpr0
                                        ; implicit-def: $vgpr1_vgpr2
	v_add_nc_u32_e32 v14, 0x6e, v10
	v_add_nc_u32_e32 v19, 0xdc, v10
	;; [unrolled: 1-line block ×5, first 2 shown]
; %bb.11:
	s_wait_alu 0xfffe
	s_or_saveexec_b32 s1, s0
	s_add_nc_u64 s[2:3], s[14:15], s[10:11]
	s_wait_alu 0xfffe
	s_xor_b32 exec_lo, exec_lo, s1
	s_cbranch_execz .LBB0_13
; %bb.12:
	s_add_nc_u64 s[10:11], s[12:13], s[10:11]
	v_lshlrev_b64_e32 v[1:2], 2, v[1:2]
	s_load_b64 s[10:11], s[10:11], 0x0
	s_wait_kmcnt 0x0
	v_mul_lo_u32 v6, s11, v12
	v_mul_lo_u32 v7, s10, v13
	v_mad_co_u64_u32 v[4:5], null, s10, v12, 0
	s_delay_alu instid0(VALU_DEP_1) | instskip(SKIP_1) | instid1(VALU_DEP_2)
	v_add3_u32 v5, v5, v7, v6
	v_mul_u32_u24_e32 v6, 0x6e, v3
	v_lshlrev_b64_e32 v[3:4], 2, v[4:5]
	s_delay_alu instid0(VALU_DEP_2) | instskip(NEXT) | instid1(VALU_DEP_1)
	v_sub_nc_u32_e32 v10, v0, v6
	v_add_nc_u32_e32 v14, 0x6e, v10
	s_delay_alu instid0(VALU_DEP_3) | instskip(SKIP_1) | instid1(VALU_DEP_4)
	v_add_co_u32 v0, s0, s4, v3
	s_wait_alu 0xf1ff
	v_add_co_ci_u32_e64 v3, s0, s5, v4, s0
	v_lshlrev_b32_e32 v4, 2, v10
	s_delay_alu instid0(VALU_DEP_3) | instskip(SKIP_1) | instid1(VALU_DEP_3)
	v_add_co_u32 v0, s0, v0, v1
	s_wait_alu 0xf1ff
	v_add_co_ci_u32_e64 v1, s0, v3, v2, s0
	v_add_nc_u32_e32 v19, 0xdc, v10
	s_delay_alu instid0(VALU_DEP_3) | instskip(SKIP_1) | instid1(VALU_DEP_3)
	v_add_co_u32 v0, s0, v0, v4
	s_wait_alu 0xf1ff
	v_add_co_ci_u32_e64 v1, s0, 0, v1, s0
	s_clause 0xa
	global_load_b32 v2, v[0:1], off
	global_load_b32 v3, v[0:1], off offset:440
	global_load_b32 v5, v[0:1], off offset:880
	;; [unrolled: 1-line block ×10, first 2 shown]
	v_add_nc_u32_e32 v1, 0, v4
	v_add_nc_u32_e32 v18, 0x14a, v10
	;; [unrolled: 1-line block ×4, first 2 shown]
	s_delay_alu instid0(VALU_DEP_4)
	v_add_nc_u32_e32 v4, 0x200, v1
	v_add_nc_u32_e32 v23, 0x600, v1
	;; [unrolled: 1-line block ×4, first 2 shown]
	s_wait_loadcnt 0x9
	ds_store_2addr_b32 v1, v2, v3 offset1:110
	s_wait_loadcnt 0x7
	ds_store_2addr_b32 v4, v5, v6 offset0:92 offset1:202
	s_wait_loadcnt 0x5
	ds_store_2addr_b32 v23, v7, v11 offset0:56 offset1:166
	;; [unrolled: 2-line block ×4, first 2 shown]
	s_wait_loadcnt 0x0
	ds_store_b32 v1, v0 offset:4400
.LBB0_13:
	s_or_b32 exec_lo, exec_lo, s1
	v_lshlrev_b32_e32 v11, 2, v10
	s_load_b64 s[2:3], s[2:3], 0x0
	global_wb scope:SCOPE_SE
	s_wait_dscnt 0x0
	s_wait_kmcnt 0x0
	s_barrier_signal -1
	s_barrier_wait -1
	v_add_nc_u32_e32 v26, 0, v11
	global_inv scope:SCOPE_SE
	v_cmp_gt_u32_e64 s0, 55, v10
	v_lshl_add_u32 v29, v18, 3, 0
	v_lshl_add_u32 v31, v17, 3, 0
	v_add_nc_u32_e32 v0, 0x600, v26
	v_add_nc_u32_e32 v1, 0x1000, v26
	;; [unrolled: 1-line block ×5, first 2 shown]
	ds_load_2addr_b32 v[4:5], v0 offset0:56 offset1:166
	ds_load_2addr_b32 v[6:7], v1 offset0:21 offset1:131
	ds_load_2addr_b32 v[20:21], v26 offset1:110
	ds_load_2addr_b32 v[22:23], v2 offset0:93 offset1:203
	ds_load_2addr_b32 v[24:25], v15 offset0:92 offset1:202
	;; [unrolled: 1-line block ×3, first 2 shown]
	v_lshl_add_u32 v15, v14, 3, 0
	v_lshl_add_u32 v0, v19, 3, 0
	v_add_nc_u32_e32 v1, v26, v11
	global_wb scope:SCOPE_SE
	s_wait_dscnt 0x0
	s_barrier_signal -1
	s_barrier_wait -1
	global_inv scope:SCOPE_SE
	v_pk_add_f16 v30, v5, v7 neg_lo:[0,1] neg_hi:[0,1]
	v_pk_add_f16 v6, v4, v6 neg_lo:[0,1] neg_hi:[0,1]
	;; [unrolled: 1-line block ×6, first 2 shown]
	v_pk_fma_f16 v27, v5, 2.0, v30 op_sel_hi:[1,0,1] neg_lo:[0,0,1] neg_hi:[0,0,1]
	v_pk_fma_f16 v5, v20, 2.0, v7 op_sel_hi:[1,0,1] neg_lo:[0,0,1] neg_hi:[0,0,1]
	;; [unrolled: 1-line block ×6, first 2 shown]
	ds_store_2addr_b32 v1, v5, v7 offset1:1
	ds_store_2addr_b32 v15, v20, v22 offset1:1
	;; [unrolled: 1-line block ×5, first 2 shown]
	s_and_saveexec_b32 s1, s0
	s_cbranch_execz .LBB0_15
; %bb.14:
	v_lshl_add_u32 v4, v16, 3, 0
	ds_store_2addr_b32 v4, v27, v30 offset1:1
.LBB0_15:
	s_wait_alu 0xfffe
	s_or_b32 exec_lo, exec_lo, s1
	v_lshlrev_b32_e32 v28, 2, v14
	v_add_nc_u32_e32 v4, 0x400, v26
	global_wb scope:SCOPE_SE
	s_wait_dscnt 0x0
	s_barrier_signal -1
	s_barrier_wait -1
	v_sub_nc_u32_e32 v5, v15, v28
	global_inv scope:SCOPE_SE
	ds_load_2addr_b32 v[6:7], v26 offset1:242
	ds_load_2addr_b32 v[24:25], v4 offset0:96 offset1:228
	ds_load_2addr_b32 v[22:23], v2 offset0:82 offset1:214
	;; [unrolled: 1-line block ×3, first 2 shown]
	ds_load_b32 v35, v5
	ds_load_b32 v37, v26 offset:4312
	v_cmp_gt_u32_e64 s1, 22, v10
	v_lshrrev_b32_e32 v34, 16, v30
                                        ; implicit-def: $vgpr31
                                        ; implicit-def: $vgpr5
                                        ; implicit-def: $vgpr33
                                        ; implicit-def: $vgpr36
                                        ; implicit-def: $vgpr32
	s_delay_alu instid0(VALU_DEP_2)
	s_and_saveexec_b32 s4, s1
	s_cbranch_execz .LBB0_17
; %bb.16:
	v_lshlrev_b32_e32 v3, 2, v19
	v_add_nc_u32_e32 v2, 0xec0, v26
	v_sub_nc_u32_e32 v1, v1, v11
	s_delay_alu instid0(VALU_DEP_3)
	v_sub_nc_u32_e32 v0, v0, v3
	ds_load_2addr_b32 v[4:5], v2 offset0:2 offset1:244
	ds_load_b32 v32, v1 offset:2816
	ds_load_b32 v30, v26 offset:1848
	ds_load_b32 v27, v0
	s_wait_dscnt 0x3
	v_lshrrev_b32_e32 v33, 16, v4
	v_lshrrev_b32_e32 v31, 16, v5
	s_wait_dscnt 0x2
	v_lshrrev_b32_e32 v36, 16, v32
	s_wait_dscnt 0x1
	v_lshrrev_b32_e32 v34, 16, v30
.LBB0_17:
	s_wait_alu 0xfffe
	s_or_b32 exec_lo, exec_lo, s4
	v_and_b32_e32 v29, 1, v10
	v_lshrrev_b32_e32 v38, 1, v14
	v_lshrrev_b32_e32 v39, 1, v10
	s_wait_dscnt 0x5
	v_lshrrev_b32_e32 v44, 16, v7
	s_wait_dscnt 0x4
	v_lshrrev_b32_e32 v45, 16, v25
	v_lshlrev_b32_e32 v0, 4, v29
	v_mul_lo_u32 v38, v38, 10
	v_mul_u32_u24_e32 v39, 10, v39
	s_wait_dscnt 0x3
	v_lshrrev_b32_e32 v46, 16, v23
	s_wait_dscnt 0x2
	v_lshrrev_b32_e32 v47, 16, v21
	global_load_b128 v[0:3], v0, s[8:9]
	v_lshrrev_b32_e32 v48, 16, v24
	v_or_b32_e32 v39, v39, v29
	v_lshrrev_b32_e32 v49, 16, v22
	v_or_b32_e32 v40, v38, v29
	v_lshrrev_b32_e32 v50, 16, v20
	s_wait_dscnt 0x0
	v_lshrrev_b32_e32 v51, 16, v37
	v_lshl_add_u32 v52, v39, 2, 0
	v_lshrrev_b32_e32 v42, 16, v6
	v_lshl_add_u32 v53, v40, 2, 0
	v_lshrrev_b32_e32 v43, 16, v35
	v_sub_nc_u32_e32 v28, 0, v28
	global_wb scope:SCOPE_SE
	s_wait_loadcnt 0x0
	s_barrier_signal -1
	s_barrier_wait -1
	global_inv scope:SCOPE_SE
	v_lshrrev_b32_e32 v38, 16, v0
	v_lshrrev_b32_e32 v41, 16, v1
	;; [unrolled: 1-line block ×4, first 2 shown]
	s_delay_alu instid0(VALU_DEP_4)
	v_mul_f16_e32 v54, v38, v44
	v_mul_f16_e32 v55, v38, v7
	;; [unrolled: 1-line block ×16, first 2 shown]
	v_fmac_f16_e32 v54, v0, v7
	v_fma_f16 v7, v0, v44, -v55
	v_fmac_f16_e32 v56, v1, v25
	v_fma_f16 v25, v1, v45, -v57
	;; [unrolled: 2-line block ×8, first 2 shown]
	v_add_f16_e32 v44, v6, v54
	v_add_f16_e32 v45, v56, v58
	;; [unrolled: 1-line block ×6, first 2 shown]
	v_sub_f16_e32 v48, v54, v56
	v_sub_f16_e32 v49, v60, v58
	;; [unrolled: 1-line block ×6, first 2 shown]
	v_add_f16_e32 v70, v35, v62
	v_add_f16_e32 v71, v64, v66
	;; [unrolled: 1-line block ×6, first 2 shown]
	v_sub_f16_e32 v46, v7, v21
	v_sub_f16_e32 v47, v25, v23
	v_sub_f16_e32 v54, v54, v60
	v_sub_f16_e32 v7, v25, v7
	v_add_f16_e32 v44, v44, v56
	v_fma_f16 v45, -0.5, v45, v6
	v_fmac_f16_e32 v6, -0.5, v50
	v_add_f16_e32 v25, v57, v25
	v_fma_f16 v50, -0.5, v59, v42
	v_sub_f16_e32 v61, v56, v58
	v_fmac_f16_e32 v42, -0.5, v67
	v_sub_f16_e32 v72, v24, v37
	v_sub_f16_e32 v73, v22, v20
	;; [unrolled: 1-line block ×7, first 2 shown]
	v_add_f16_e32 v48, v48, v49
	v_add_f16_e32 v49, v51, v55
	v_add_f16_e32 v51, v63, v65
	v_add_f16_e32 v55, v70, v64
	v_fma_f16 v56, -0.5, v71, v35
	v_add_f16_e32 v22, v79, v22
	v_fma_f16 v63, -0.5, v80, v43
	v_sub_f16_e32 v69, v23, v21
	v_sub_f16_e32 v81, v64, v66
	v_fmac_f16_e32 v35, -0.5, v76
	v_fmac_f16_e32 v43, -0.5, v84
	v_add_f16_e32 v44, v44, v58
	v_fmamk_f16 v58, v46, 0xbb9c, v45
	v_add_f16_e32 v23, v25, v23
	v_fmamk_f16 v25, v54, 0x3b9c, v50
	v_fmamk_f16 v65, v47, 0x3b9c, v6
	v_fmac_f16_e32 v6, 0xbb9c, v47
	v_fmamk_f16 v67, v61, 0xbb9c, v42
	v_fmac_f16_e32 v42, 0x3b9c, v61
	v_fmac_f16_e32 v45, 0x3b9c, v46
	;; [unrolled: 1-line block ×3, first 2 shown]
	v_sub_f16_e32 v75, v68, v66
	v_sub_f16_e32 v78, v66, v68
	;; [unrolled: 1-line block ×4, first 2 shown]
	v_add_f16_e32 v55, v55, v66
	v_fmamk_f16 v66, v72, 0xbb9c, v56
	v_add_f16_e32 v20, v22, v20
	v_fmamk_f16 v22, v62, 0x3b9c, v63
	;; [unrolled: 2-line block ×3, first 2 shown]
	v_fmac_f16_e32 v35, 0xbb9c, v73
	v_fmamk_f16 v70, v81, 0xbb9c, v43
	v_fmac_f16_e32 v43, 0x3b9c, v81
	v_fmac_f16_e32 v56, 0x3b9c, v72
	;; [unrolled: 1-line block ×11, first 2 shown]
	v_add_f16_e32 v57, v74, v75
	v_add_f16_e32 v64, v82, v83
	v_fmac_f16_e32 v66, 0xb8b4, v73
	v_fmac_f16_e32 v22, 0x38b4, v81
	v_add_f16_e32 v59, v77, v78
	v_add_f16_e32 v24, v24, v85
	v_fmac_f16_e32 v69, 0xb8b4, v72
	v_fmac_f16_e32 v35, 0x38b4, v72
	v_fmac_f16_e32 v70, 0x38b4, v62
	v_fmac_f16_e32 v43, 0xb8b4, v62
	v_add_f16_e32 v44, v44, v60
	v_add_f16_e32 v21, v23, v21
	v_fmac_f16_e32 v56, 0x38b4, v73
	v_fmac_f16_e32 v63, 0xb8b4, v81
	;; [unrolled: 6-line block ×3, first 2 shown]
	v_fmac_f16_e32 v67, 0x34f2, v7
	v_fmac_f16_e32 v42, 0x34f2, v7
	;; [unrolled: 1-line block ×12, first 2 shown]
	v_pack_b32_f16 v7, v44, v21
	v_pack_b32_f16 v21, v58, v25
	;; [unrolled: 1-line block ×10, first 2 shown]
	ds_store_2addr_b32 v52, v7, v21 offset1:2
	ds_store_2addr_b32 v52, v23, v6 offset0:4 offset1:6
	ds_store_b32 v52, v24 offset:32
	ds_store_2addr_b32 v53, v20, v22 offset1:2
	ds_store_2addr_b32 v53, v25, v35 offset0:4 offset1:6
	ds_store_b32 v53, v37 offset:32
	s_and_saveexec_b32 s4, s1
	s_cbranch_execz .LBB0_19
; %bb.18:
	v_mul_f16_e32 v6, v30, v38
	v_mul_f16_e32 v7, v32, v41
	;; [unrolled: 1-line block ×8, first 2 shown]
	v_fma_f16 v6, v34, v0, -v6
	v_fma_f16 v7, v36, v1, -v7
	;; [unrolled: 1-line block ×3, first 2 shown]
	v_fmac_f16_e32 v22, v32, v1
	v_fmac_f16_e32 v23, v4, v2
	;; [unrolled: 1-line block ×4, first 2 shown]
	v_fma_f16 v2, v31, v3, -v20
	v_sub_f16_e32 v4, v6, v7
	v_lshrrev_b32_e32 v1, 16, v27
	v_sub_f16_e32 v33, v24, v22
	v_sub_f16_e32 v34, v25, v23
	;; [unrolled: 1-line block ×3, first 2 shown]
	v_add_f16_e32 v0, v7, v21
	v_sub_f16_e32 v31, v22, v23
	v_add_f16_e32 v37, v27, v24
	v_sub_f16_e32 v30, v6, v2
	v_add_f16_e32 v4, v4, v20
	v_add_f16_e32 v20, v33, v34
	;; [unrolled: 1-line block ×4, first 2 shown]
	v_fma_f16 v0, -0.5, v0, v1
	v_sub_f16_e32 v36, v7, v21
	v_sub_f16_e32 v6, v7, v6
	v_fmac_f16_e32 v1, -0.5, v33
	v_add_f16_e32 v33, v34, v7
	v_sub_f16_e32 v7, v21, v2
	v_sub_f16_e32 v5, v24, v25
	v_add_f16_e32 v34, v37, v22
	v_fmamk_f16 v37, v31, 0x3b9c, v1
	v_fmac_f16_e32 v1, 0xbb9c, v31
	v_add_f16_e32 v3, v22, v23
	v_add_f16_e32 v6, v6, v7
	;; [unrolled: 1-line block ×3, first 2 shown]
	v_fmac_f16_e32 v37, 0xb8b4, v5
	v_fmac_f16_e32 v1, 0x38b4, v5
	v_fma_f16 v3, -0.5, v3, v27
	v_fmamk_f16 v32, v5, 0x3b9c, v0
	v_fmac_f16_e32 v27, -0.5, v7
	v_fmac_f16_e32 v37, 0x34f2, v6
	v_fmac_f16_e32 v1, 0x34f2, v6
	v_lshrrev_b32_e32 v6, 1, v19
	v_fmamk_f16 v35, v30, 0xbb9c, v3
	v_fmac_f16_e32 v0, 0xbb9c, v5
	v_sub_f16_e32 v5, v22, v24
	v_sub_f16_e32 v7, v23, v25
	v_fmamk_f16 v22, v36, 0xbb9c, v27
	v_fmac_f16_e32 v27, 0x3b9c, v36
	v_mul_lo_u32 v6, v6, 10
	v_fmac_f16_e32 v3, 0x3b9c, v30
	v_fmac_f16_e32 v32, 0x38b4, v31
	;; [unrolled: 1-line block ×3, first 2 shown]
	v_add_f16_e32 v21, v33, v21
	v_add_f16_e32 v33, v34, v23
	;; [unrolled: 1-line block ×3, first 2 shown]
	v_fmac_f16_e32 v22, 0x38b4, v30
	v_fmac_f16_e32 v27, 0xb8b4, v30
	;; [unrolled: 1-line block ×6, first 2 shown]
	v_add_f16_e32 v2, v21, v2
	v_add_f16_e32 v21, v33, v25
	v_or_b32_e32 v6, v6, v29
	v_fmac_f16_e32 v22, 0x34f2, v5
	v_fmac_f16_e32 v27, 0x34f2, v5
	;; [unrolled: 1-line block ×4, first 2 shown]
	v_lshl_add_u32 v4, v6, 2, 0
	v_pack_b32_f16 v2, v21, v2
	v_pack_b32_f16 v5, v35, v32
	;; [unrolled: 1-line block ×5, first 2 shown]
	ds_store_2addr_b32 v4, v2, v5 offset1:2
	ds_store_2addr_b32 v4, v1, v6 offset0:4 offset1:6
	ds_store_b32 v4, v0 offset:32
.LBB0_19:
	s_wait_alu 0xfffe
	s_or_b32 exec_lo, exec_lo, s4
	v_and_b32_e32 v0, 0xff, v10
	global_wb scope:SCOPE_SE
	s_wait_dscnt 0x0
	s_barrier_signal -1
	s_barrier_wait -1
	global_inv scope:SCOPE_SE
	v_mul_lo_u16 v0, 0xcd, v0
	v_add_nc_u32_e32 v31, v15, v28
	v_add_nc_u32_e32 v32, 0xc00, v26
	v_add_nc_u32_e32 v15, 0xa00, v26
	v_lshl_add_u32 v30, v19, 2, 0
	v_lshrrev_b16 v35, 11, v0
	v_lshl_add_u32 v29, v18, 2, 0
	v_lshl_add_u32 v28, v17, 2, 0
	;; [unrolled: 1-line block ×3, first 2 shown]
	v_mul_u32_u24_e32 v42, 10, v10
	v_mul_lo_u16 v0, v35, 10
	v_and_b32_e32 v35, 0xffff, v35
	s_mov_b32 s4, exec_lo
	s_delay_alu instid0(VALU_DEP_3) | instskip(NEXT) | instid1(VALU_DEP_3)
	v_lshlrev_b32_e32 v42, 2, v42
	v_sub_nc_u16 v0, v10, v0
	s_delay_alu instid0(VALU_DEP_3) | instskip(NEXT) | instid1(VALU_DEP_2)
	v_mul_u32_u24_e32 v35, 0x1b8, v35
	v_and_b32_e32 v34, 0xff, v0
	s_delay_alu instid0(VALU_DEP_1) | instskip(SKIP_1) | instid1(VALU_DEP_2)
	v_mul_u32_u24_e32 v0, 10, v34
	v_lshlrev_b32_e32 v34, 2, v34
	v_lshlrev_b32_e32 v20, 2, v0
	s_delay_alu instid0(VALU_DEP_2)
	v_add3_u32 v34, 0, v35, v34
	s_clause 0x2
	global_load_b128 v[0:3], v20, s[8:9] offset:32
	global_load_b128 v[4:7], v20, s[8:9] offset:48
	global_load_b64 v[20:21], v20, s[8:9] offset:64
	ds_load_b32 v33, v26
	ds_load_b32 v36, v26 offset:4400
	ds_load_2addr_b32 v[24:25], v15 offset0:20 offset1:130
	ds_load_2addr_b32 v[22:23], v32 offset0:112 offset1:222
	ds_load_b32 v41, v31
	ds_load_b32 v40, v30
	;; [unrolled: 1-line block ×5, first 2 shown]
	global_wb scope:SCOPE_SE
	s_wait_loadcnt_dscnt 0x0
	s_barrier_signal -1
	s_barrier_wait -1
	global_inv scope:SCOPE_SE
	v_lshrrev_b32_e32 v49, 16, v41
	v_lshrrev_b32_e32 v50, 16, v40
	;; [unrolled: 1-line block ×16, first 2 shown]
	v_mul_f16_e32 v63, v35, v49
	v_mul_f16_e32 v35, v35, v41
	v_lshrrev_b32_e32 v55, 16, v2
	v_lshrrev_b32_e32 v57, 16, v4
	v_mul_f16_e32 v64, v54, v50
	v_mul_f16_e32 v54, v54, v40
	;; [unrolled: 1-line block ×5, first 2 shown]
	v_fmac_f16_e32 v63, v0, v41
	v_fma_f16 v0, v0, v49, -v35
	v_lshrrev_b32_e32 v56, 16, v3
	v_lshrrev_b32_e32 v58, 16, v5
	;; [unrolled: 1-line block ×3, first 2 shown]
	v_mul_f16_e32 v72, v44, v62
	v_mul_f16_e32 v62, v36, v62
	;; [unrolled: 1-line block ×6, first 2 shown]
	v_fmac_f16_e32 v64, v1, v40
	v_fma_f16 v1, v1, v50, -v54
	v_fmac_f16_e32 v70, v22, v7
	v_fmac_f16_e32 v71, v23, v20
	v_fma_f16 v20, v48, v20, -v61
	v_add_f16_e32 v22, v63, v33
	v_add_f16_e32 v23, v0, v43
	v_mul_f16_e32 v66, v56, v52
	v_mul_f16_e32 v56, v56, v38
	;; [unrolled: 1-line block ×7, first 2 shown]
	v_fmac_f16_e32 v72, v36, v21
	v_fma_f16 v21, v44, v21, -v62
	v_fmac_f16_e32 v65, v2, v39
	v_fma_f16 v2, v2, v51, -v55
	v_fmac_f16_e32 v67, v4, v37
	v_add_f16_e32 v37, v1, v20
	v_sub_f16_e32 v39, v1, v20
	v_add_f16_e32 v22, v22, v64
	v_add_f16_e32 v1, v23, v1
	v_fmac_f16_e32 v66, v3, v38
	v_fma_f16 v3, v3, v52, -v56
	v_fma_f16 v4, v4, v53, -v57
	v_fmac_f16_e32 v68, v24, v5
	v_fma_f16 v5, v45, v5, -v58
	v_fmac_f16_e32 v69, v25, v6
	v_fma_f16 v6, v46, v6, -v59
	v_fma_f16 v7, v47, v7, -v60
	v_add_f16_e32 v25, v0, v21
	v_sub_f16_e32 v0, v0, v21
	v_add_f16_e32 v22, v22, v65
	v_add_f16_e32 v1, v1, v2
	;; [unrolled: 1-line block ×3, first 2 shown]
	v_sub_f16_e32 v35, v63, v72
	v_add_f16_e32 v41, v2, v7
	v_sub_f16_e32 v45, v2, v7
	v_sub_f16_e32 v46, v3, v6
	v_add_f16_e32 v48, v3, v6
	v_sub_f16_e32 v50, v4, v5
	v_add_f16_e32 v52, v4, v5
	v_mul_f16_e32 v23, 0xb853, v0
	v_mul_f16_e32 v54, 0x3abb, v25
	;; [unrolled: 1-line block ×10, first 2 shown]
	v_add_f16_e32 v22, v22, v66
	v_add_f16_e32 v1, v1, v3
	;; [unrolled: 1-line block ×3, first 2 shown]
	v_sub_f16_e32 v38, v64, v71
	v_add_f16_e32 v40, v65, v70
	v_sub_f16_e32 v44, v65, v70
	v_add_f16_e32 v47, v66, v69
	;; [unrolled: 2-line block ×3, first 2 shown]
	v_sub_f16_e32 v53, v67, v68
	v_mul_f16_e32 v61, 0xbb47, v39
	v_mul_f16_e32 v62, 0x36a6, v37
	;; [unrolled: 1-line block ×40, first 2 shown]
	v_fmamk_f16 v2, v24, 0x3abb, v23
	v_fmamk_f16 v65, v35, 0x3853, v54
	v_fma_f16 v23, v24, 0x3abb, -v23
	v_fmac_f16_e32 v54, 0xb853, v35
	v_fmamk_f16 v101, v24, 0x36a6, v55
	v_fmamk_f16 v102, v35, 0x3b47, v56
	v_fma_f16 v55, v24, 0x36a6, -v55
	v_fmac_f16_e32 v56, 0xbb47, v35
	;; [unrolled: 4-line block ×5, first 2 shown]
	v_add_f16_e32 v22, v22, v67
	v_add_f16_e32 v1, v1, v4
	v_fmamk_f16 v24, v36, 0x36a6, v61
	v_fmamk_f16 v35, v38, 0x3b47, v62
	v_fma_f16 v61, v36, 0x36a6, -v61
	v_fmac_f16_e32 v62, 0xbb47, v38
	v_fmamk_f16 v109, v36, 0xb93d, v63
	v_fmamk_f16 v110, v38, 0x3a0c, v64
	v_fma_f16 v63, v36, 0xb93d, -v63
	v_fmac_f16_e32 v64, 0xba0c, v38
	;; [unrolled: 4-line block ×5, first 2 shown]
	v_fmamk_f16 v38, v40, 0xb08e, v77
	v_fma_f16 v39, v40, 0xb08e, -v77
	v_fmamk_f16 v77, v40, 0xbbad, v79
	v_fma_f16 v79, v40, 0xbbad, -v79
	;; [unrolled: 2-line block ×5, first 2 shown]
	v_fmamk_f16 v45, v44, 0x3beb, v78
	v_fmac_f16_e32 v78, 0xbbeb, v44
	v_fmamk_f16 v120, v44, 0xb482, v82
	v_fmac_f16_e32 v82, 0x3482, v44
	;; [unrolled: 2-line block ×5, first 2 shown]
	v_fmamk_f16 v44, v47, 0xb93d, v85
	v_fma_f16 v85, v47, 0xb93d, -v85
	v_fmamk_f16 v124, v47, 0xb08e, v86
	v_fma_f16 v86, v47, 0xb08e, -v86
	;; [unrolled: 2-line block ×5, first 2 shown]
	v_fmamk_f16 v47, v49, 0x3a0c, v89
	v_fmac_f16_e32 v89, 0xba0c, v49
	v_fma_f16 v128, 0xbbeb, v49, v90
	v_fmac_f16_e32 v90, 0x3beb, v49
	v_fma_f16 v129, 0x3853, v49, v91
	;; [unrolled: 2-line block ×4, first 2 shown]
	v_fmac_f16_e32 v48, 0x3b47, v49
	v_fmamk_f16 v49, v51, 0xbbad, v93
	v_fma_f16 v93, v51, 0xbbad, -v93
	v_fma_f16 v132, 0x3abb, v51, v94
	v_fma_f16 v94, v51, 0x3abb, -v94
	v_fma_f16 v133, 0xb93d, v51, v95
	;; [unrolled: 2-line block ×4, first 2 shown]
	v_fma_f16 v50, v51, 0xb08e, -v50
	v_fmamk_f16 v51, v53, 0x3482, v97
	v_fmac_f16_e32 v97, 0xb482, v53
	v_fma_f16 v136, 0xb853, v53, v98
	v_fmac_f16_e32 v98, 0x3853, v53
	v_fma_f16 v137, 0x3a0c, v53, v99
	;; [unrolled: 2-line block ×4, first 2 shown]
	v_fmac_f16_e32 v52, 0xbbeb, v53
	v_add_f16_e32 v2, v2, v33
	v_add_f16_e32 v3, v23, v33
	v_add_f16_e32 v23, v101, v33
	v_add_f16_e32 v53, v55, v33
	v_add_f16_e32 v55, v103, v33
	v_add_f16_e32 v57, v57, v33
	v_add_f16_e32 v66, v105, v33
	v_add_f16_e32 v59, v59, v33
	v_add_f16_e32 v101, v107, v33
	v_add_f16_e32 v0, v0, v33
	v_add_f16_e32 v33, v65, v43
	v_add_f16_e32 v54, v54, v43
	v_add_f16_e32 v65, v102, v43
	v_add_f16_e32 v56, v56, v43
	v_add_f16_e32 v102, v104, v43
	v_add_f16_e32 v58, v58, v43
	v_add_f16_e32 v103, v106, v43
	v_add_f16_e32 v60, v60, v43
	v_add_f16_e32 v104, v108, v43
	v_add_f16_e32 v25, v25, v43
	v_add_f16_e32 v22, v22, v68
	v_add_f16_e32 v1, v1, v5
	v_add_f16_e32 v2, v24, v2
	v_add_f16_e32 v4, v35, v33
	v_add_f16_e32 v3, v61, v3
	v_add_f16_e32 v24, v62, v54
	v_add_f16_e32 v23, v109, v23
	v_add_f16_e32 v33, v110, v65
	v_add_f16_e32 v35, v63, v53
	v_add_f16_e32 v43, v64, v56
	v_add_f16_e32 v53, v111, v55
	v_add_f16_e32 v54, v112, v102
	v_add_f16_e32 v55, v73, v57
	v_add_f16_e32 v56, v74, v58
	v_add_f16_e32 v57, v113, v66
	v_add_f16_e32 v58, v114, v103
	v_add_f16_e32 v59, v75, v59
	v_add_f16_e32 v60, v76, v60
	v_add_f16_e32 v61, v115, v101
	v_add_f16_e32 v62, v116, v104
	v_add_f16_e32 v0, v36, v0
	v_add_f16_e32 v25, v37, v25
	v_add_f16_e32 v22, v22, v69
	v_add_f16_e32 v1, v1, v6
	v_add_f16_e32 v2, v38, v2
	v_add_f16_e32 v4, v45, v4
	v_add_f16_e32 v3, v39, v3
	v_add_f16_e32 v5, v78, v24
	v_add_f16_e32 v23, v77, v23
	v_add_f16_e32 v24, v120, v33
	v_add_f16_e32 v33, v79, v35
	v_add_f16_e32 v35, v82, v43
	v_add_f16_e32 v36, v117, v53
	v_add_f16_e32 v37, v121, v54
	v_add_f16_e32 v38, v80, v55
	v_add_f16_e32 v39, v83, v56
	v_add_f16_e32 v43, v118, v57
	v_add_f16_e32 v45, v122, v58
	v_add_f16_e32 v53, v81, v59
	v_add_f16_e32 v54, v84, v60
	v_add_f16_e32 v55, v119, v61
	v_add_f16_e32 v56, v123, v62
	v_add_f16_e32 v0, v40, v0
	v_add_f16_e32 v25, v41, v25
	v_add_f16_e32 v22, v22, v70
	v_add_f16_e32 v1, v1, v7
	v_add_f16_e32 v2, v44, v2
	v_add_f16_e32 v4, v47, v4
	v_add_f16_e32 v6, v124, v23
	v_add_f16_e64 v23, v128, v24
	v_add_f16_e32 v24, v86, v33
	v_add_f16_e32 v33, v90, v35
	v_add_f16_e32 v35, v125, v36
	v_add_f16_e64 v36, v129, v37
	v_add_f16_e32 v37, v87, v38
	v_add_f16_e32 v38, v91, v39
	v_add_f16_e32 v39, v126, v43
	v_add_f16_e64 v40, v130, v45
	v_add_f16_e32 v41, v88, v53
	v_add_f16_e32 v43, v92, v54
	v_add_f16_e32 v44, v127, v55
	v_add_f16_e64 v45, v131, v56
	v_add_f16_e32 v0, v46, v0
	v_add_f16_e32 v25, v48, v25
	v_add_f16_e32 v3, v85, v3
	v_add_f16_e32 v5, v89, v5
	v_add_f16_e32 v22, v22, v71
	;; [unrolled: 1-line block ×5, first 2 shown]
	v_add_f16_e64 v6, v132, v6
	v_add_f16_e64 v7, v136, v23
	v_add_f16_e32 v23, v94, v24
	v_add_f16_e32 v24, v98, v33
	v_add_f16_e64 v33, v133, v35
	v_add_f16_e64 v35, v137, v36
	v_add_f16_e32 v36, v95, v37
	v_add_f16_e32 v37, v99, v38
	;; [unrolled: 4-line block ×4, first 2 shown]
	v_add_f16_e32 v3, v93, v3
	v_add_f16_e32 v5, v97, v5
	;; [unrolled: 1-line block ×4, first 2 shown]
	v_pack_b32_f16 v2, v2, v4
	v_pack_b32_f16 v4, v6, v7
	;; [unrolled: 1-line block ×11, first 2 shown]
	ds_store_2addr_b32 v34, v4, v6 offset0:20 offset1:30
	ds_store_2addr_b32 v34, v7, v20 offset0:40 offset1:50
	;; [unrolled: 1-line block ×4, first 2 shown]
	ds_store_b32 v34, v3 offset:400
	ds_store_2addr_b32 v34, v1, v2 offset1:10
	global_wb scope:SCOPE_SE
	s_wait_dscnt 0x0
	s_barrier_signal -1
	s_barrier_wait -1
	global_inv scope:SCOPE_SE
	s_clause 0x2
	global_load_b128 v[0:3], v42, s[8:9] offset:432
	global_load_b128 v[4:7], v42, s[8:9] offset:448
	global_load_b64 v[20:21], v42, s[8:9] offset:464
	ds_load_2addr_b32 v[24:25], v15 offset0:20 offset1:130
	ds_load_2addr_b32 v[22:23], v32 offset0:112 offset1:222
	ds_load_b32 v34, v26 offset:4400
	ds_load_b32 v39, v31
	ds_load_b32 v38, v30
	;; [unrolled: 1-line block ×6, first 2 shown]
	v_add_nc_u32_e32 v40, 0x200, v26
	v_add_nc_u32_e32 v41, 0x600, v26
	global_wb scope:SCOPE_SE
	s_wait_loadcnt_dscnt 0x0
	s_barrier_signal -1
	s_barrier_wait -1
	global_inv scope:SCOPE_SE
	v_lshrrev_b32_e32 v42, 16, v24
	v_lshrrev_b32_e32 v44, 16, v22
	;; [unrolled: 1-line block ×16, first 2 shown]
	v_mul_f16_e32 v63, v53, v47
	v_mul_f16_e32 v53, v53, v39
	v_lshrrev_b32_e32 v55, 16, v2
	v_lshrrev_b32_e32 v56, 16, v3
	v_mul_f16_e32 v64, v54, v48
	v_mul_f16_e32 v54, v54, v38
	;; [unrolled: 1-line block ×5, first 2 shown]
	v_fmac_f16_e32 v63, v0, v39
	v_fma_f16 v0, v0, v47, -v53
	v_lshrrev_b32_e32 v57, 16, v4
	v_lshrrev_b32_e32 v58, 16, v5
	;; [unrolled: 1-line block ×3, first 2 shown]
	v_mul_f16_e32 v72, v46, v62
	v_mul_f16_e32 v62, v34, v62
	;; [unrolled: 1-line block ×6, first 2 shown]
	v_fmac_f16_e32 v64, v1, v38
	v_fma_f16 v1, v1, v48, -v54
	v_fmac_f16_e32 v70, v22, v7
	v_fmac_f16_e32 v71, v23, v20
	v_fma_f16 v20, v45, v20, -v61
	v_add_f16_e32 v22, v63, v33
	v_add_f16_e32 v23, v0, v52
	v_mul_f16_e32 v56, v56, v36
	v_mul_f16_e32 v67, v57, v51
	;; [unrolled: 1-line block ×7, first 2 shown]
	v_fmac_f16_e32 v72, v34, v21
	v_fma_f16 v21, v46, v21, -v62
	v_fmac_f16_e32 v65, v2, v37
	v_fma_f16 v2, v2, v49, -v55
	v_fmac_f16_e32 v66, v3, v36
	v_add_f16_e32 v36, v1, v20
	v_sub_f16_e32 v38, v1, v20
	v_add_f16_e32 v22, v22, v64
	v_add_f16_e32 v1, v23, v1
	v_fma_f16 v3, v3, v50, -v56
	v_fmac_f16_e32 v67, v4, v35
	v_fma_f16 v4, v4, v51, -v57
	v_fmac_f16_e32 v68, v24, v5
	;; [unrolled: 2-line block ×3, first 2 shown]
	v_fma_f16 v6, v43, v6, -v59
	v_fma_f16 v7, v44, v7, -v60
	v_add_f16_e32 v25, v0, v21
	v_sub_f16_e32 v0, v0, v21
	v_add_f16_e32 v22, v22, v65
	v_add_f16_e32 v1, v1, v2
	;; [unrolled: 1-line block ×3, first 2 shown]
	v_sub_f16_e32 v34, v63, v72
	v_add_f16_e32 v42, v2, v7
	v_sub_f16_e32 v44, v2, v7
	v_sub_f16_e32 v45, v3, v6
	v_add_f16_e32 v47, v3, v6
	v_sub_f16_e32 v49, v4, v5
	v_add_f16_e32 v51, v4, v5
	v_mul_f16_e32 v23, 0xb853, v0
	v_mul_f16_e32 v54, 0x3abb, v25
	;; [unrolled: 1-line block ×10, first 2 shown]
	v_add_f16_e32 v22, v22, v66
	v_add_f16_e32 v1, v1, v3
	;; [unrolled: 1-line block ×3, first 2 shown]
	v_sub_f16_e32 v37, v64, v71
	v_add_f16_e32 v39, v65, v70
	v_sub_f16_e32 v43, v65, v70
	v_add_f16_e32 v46, v66, v69
	;; [unrolled: 2-line block ×3, first 2 shown]
	v_sub_f16_e32 v53, v67, v68
	v_mul_f16_e32 v61, 0xbb47, v38
	v_mul_f16_e32 v62, 0x36a6, v36
	;; [unrolled: 1-line block ×40, first 2 shown]
	v_fmamk_f16 v2, v24, 0x3abb, v23
	v_fmamk_f16 v65, v34, 0x3853, v54
	v_fma_f16 v23, v24, 0x3abb, -v23
	v_fmac_f16_e32 v54, 0xb853, v34
	v_fmamk_f16 v101, v24, 0x36a6, v55
	v_fmamk_f16 v102, v34, 0x3b47, v56
	v_fma_f16 v55, v24, 0x36a6, -v55
	v_fmac_f16_e32 v56, 0xbb47, v34
	;; [unrolled: 4-line block ×5, first 2 shown]
	v_add_f16_e32 v22, v22, v67
	v_add_f16_e32 v1, v1, v4
	v_fmamk_f16 v24, v35, 0x36a6, v61
	v_fmamk_f16 v34, v37, 0x3b47, v62
	v_fma_f16 v61, v35, 0x36a6, -v61
	v_fmac_f16_e32 v62, 0xbb47, v37
	v_fmamk_f16 v109, v35, 0xb93d, v63
	v_fmamk_f16 v110, v37, 0x3a0c, v64
	v_fma_f16 v63, v35, 0xb93d, -v63
	v_fmac_f16_e32 v64, 0xba0c, v37
	;; [unrolled: 4-line block ×5, first 2 shown]
	v_fmamk_f16 v37, v39, 0xb08e, v77
	v_fma_f16 v38, v39, 0xb08e, -v77
	v_fmamk_f16 v77, v39, 0xbbad, v79
	v_fma_f16 v79, v39, 0xbbad, -v79
	;; [unrolled: 2-line block ×5, first 2 shown]
	v_fmamk_f16 v44, v43, 0x3beb, v78
	v_fmac_f16_e32 v78, 0xbbeb, v43
	v_fmamk_f16 v120, v43, 0xb482, v80
	v_fmac_f16_e32 v80, 0x3482, v43
	;; [unrolled: 2-line block ×5, first 2 shown]
	v_fmamk_f16 v43, v46, 0xb93d, v85
	v_fma_f16 v85, v46, 0xb93d, -v85
	v_fmamk_f16 v124, v46, 0xb08e, v86
	v_fma_f16 v86, v46, 0xb08e, -v86
	;; [unrolled: 2-line block ×5, first 2 shown]
	v_fmamk_f16 v46, v48, 0x3a0c, v89
	v_fmac_f16_e32 v89, 0xba0c, v48
	v_fma_f16 v128, 0xbbeb, v48, v90
	v_fmac_f16_e32 v90, 0x3beb, v48
	v_fma_f16 v129, 0x3853, v48, v91
	;; [unrolled: 2-line block ×4, first 2 shown]
	v_fmac_f16_e32 v47, 0x3b47, v48
	v_fmamk_f16 v48, v50, 0xbbad, v93
	v_fma_f16 v93, v50, 0xbbad, -v93
	v_fma_f16 v132, 0x3abb, v50, v94
	v_fma_f16 v94, v50, 0x3abb, -v94
	v_fma_f16 v133, 0xb93d, v50, v95
	;; [unrolled: 2-line block ×4, first 2 shown]
	v_fma_f16 v49, v50, 0xb08e, -v49
	v_fmamk_f16 v50, v53, 0x3482, v97
	v_fmac_f16_e32 v97, 0xb482, v53
	v_fma_f16 v136, 0xb853, v53, v98
	v_fmac_f16_e32 v98, 0x3853, v53
	v_fma_f16 v137, 0x3a0c, v53, v99
	;; [unrolled: 2-line block ×4, first 2 shown]
	v_fmac_f16_e32 v51, 0xbbeb, v53
	v_add_f16_e32 v2, v2, v33
	v_add_f16_e32 v3, v23, v33
	;; [unrolled: 1-line block ×69, first 2 shown]
	v_add_f16_e64 v23, v128, v24
	v_add_f16_e32 v24, v86, v33
	v_add_f16_e32 v33, v90, v34
	v_add_f16_e32 v34, v125, v35
	v_add_f16_e64 v35, v129, v36
	v_add_f16_e32 v36, v87, v37
	v_add_f16_e32 v37, v91, v38
	v_add_f16_e32 v38, v126, v44
	;; [unrolled: 4-line block ×4, first 2 shown]
	v_add_f16_e32 v5, v89, v5
	v_add_f16_e32 v22, v22, v71
	;; [unrolled: 1-line block ×5, first 2 shown]
	v_add_f16_e64 v6, v132, v6
	v_add_f16_e64 v7, v136, v23
	v_add_f16_e32 v23, v94, v24
	v_add_f16_e32 v24, v98, v33
	v_add_f16_e64 v33, v133, v34
	v_add_f16_e64 v34, v137, v35
	v_add_f16_e32 v35, v95, v36
	v_add_f16_e32 v36, v99, v37
	;; [unrolled: 4-line block ×4, first 2 shown]
	v_add_f16_e32 v3, v93, v3
	v_add_f16_e32 v5, v97, v5
	;; [unrolled: 1-line block ×4, first 2 shown]
	v_pack_b32_f16 v2, v2, v4
	v_pack_b32_f16 v4, v6, v7
	;; [unrolled: 1-line block ×11, first 2 shown]
	ds_store_2addr_b32 v40, v4, v6 offset0:92 offset1:202
	ds_store_2addr_b32 v41, v7, v20 offset0:56 offset1:166
	;; [unrolled: 1-line block ×4, first 2 shown]
	ds_store_b32 v26, v3 offset:4400
	ds_store_2addr_b32 v26, v1, v2 offset1:110
	global_wb scope:SCOPE_SE
	s_wait_dscnt 0x0
	s_barrier_signal -1
	s_barrier_wait -1
	global_inv scope:SCOPE_SE
	ds_load_b32 v4, v26
	v_sub_nc_u32_e32 v0, 0, v11
                                        ; implicit-def: $vgpr3
                                        ; implicit-def: $vgpr2
                                        ; implicit-def: $vgpr1
	s_wait_dscnt 0x0
	v_lshrrev_b32_e32 v5, 16, v4
	v_cmpx_ne_u32_e32 0, v10
	s_wait_alu 0xfffe
	s_xor_b32 s4, exec_lo, s4
	s_cbranch_execz .LBB0_21
; %bb.20:
	v_mov_b32_e32 v11, 0
	s_delay_alu instid0(VALU_DEP_1) | instskip(NEXT) | instid1(VALU_DEP_1)
	v_lshlrev_b64_e32 v[1:2], 2, v[10:11]
	v_add_co_u32 v1, s1, s8, v1
	s_wait_alu 0xf1ff
	s_delay_alu instid0(VALU_DEP_2)
	v_add_co_ci_u32_e64 v2, s1, s9, v2, s1
	global_load_b32 v3, v[1:2], off offset:4832
	ds_load_b32 v1, v0 offset:4840
	s_wait_dscnt 0x0
	v_lshrrev_b32_e32 v2, 16, v1
	v_sub_f16_e32 v6, v4, v1
	v_add_f16_e32 v1, v1, v4
	s_delay_alu instid0(VALU_DEP_3) | instskip(SKIP_1) | instid1(VALU_DEP_4)
	v_add_f16_e32 v7, v2, v5
	v_sub_f16_e32 v2, v5, v2
	v_mul_f16_e32 v5, 0.5, v6
	s_delay_alu instid0(VALU_DEP_3) | instskip(NEXT) | instid1(VALU_DEP_3)
	v_mul_f16_e32 v4, 0.5, v7
	v_mul_f16_e32 v2, 0.5, v2
	s_wait_loadcnt 0x0
	v_lshrrev_b32_e32 v6, 16, v3
	s_delay_alu instid0(VALU_DEP_1) | instskip(NEXT) | instid1(VALU_DEP_3)
	v_mul_f16_e32 v7, v6, v5
	v_fma_f16 v11, v4, v6, v2
	v_fma_f16 v6, v4, v6, -v2
	s_delay_alu instid0(VALU_DEP_3) | instskip(SKIP_1) | instid1(VALU_DEP_4)
	v_fma_f16 v15, 0.5, v1, v7
	v_fma_f16 v7, v1, 0.5, -v7
	v_fma_f16 v1, -v3, v5, v11
	s_delay_alu instid0(VALU_DEP_3) | instskip(NEXT) | instid1(VALU_DEP_3)
	v_fmac_f16_e32 v15, v3, v4
	v_fma_f16 v2, -v3, v4, v7
	v_fma_f16 v3, -v3, v5, v6
                                        ; implicit-def: $vgpr5
                                        ; implicit-def: $vgpr4
	ds_store_b16 v26, v15
.LBB0_21:
	s_wait_alu 0xfffe
	s_and_not1_saveexec_b32 s1, s4
	s_cbranch_execz .LBB0_23
; %bb.22:
	v_mov_b32_e32 v1, 0
	v_add_f16_e32 v6, v5, v4
	v_sub_f16_e32 v2, v4, v5
	ds_load_u16 v3, v1 offset:2422
	s_wait_dscnt 0x0
	v_xor_b32_e32 v4, 0x8000, v3
	v_mov_b32_e32 v3, 0
	ds_store_b16 v26, v6
	ds_store_b16 v1, v4 offset:2422
.LBB0_23:
	s_wait_alu 0xfffe
	s_or_b32 exec_lo, exec_lo, s1
	v_mov_b32_e32 v15, 0
	v_perm_b32 v2, v3, v2, 0x5040100
	s_delay_alu instid0(VALU_DEP_2) | instskip(SKIP_1) | instid1(VALU_DEP_2)
	v_lshlrev_b64_e32 v[4:5], 2, v[14:15]
	v_mov_b32_e32 v20, v15
	v_add_co_u32 v4, s1, s8, v4
	s_wait_alu 0xf1ff
	s_delay_alu instid0(VALU_DEP_3) | instskip(SKIP_3) | instid1(VALU_DEP_2)
	v_add_co_ci_u32_e64 v5, s1, s9, v5, s1
	global_load_b32 v6, v[4:5], off offset:4832
	v_lshlrev_b64_e32 v[4:5], 2, v[19:20]
	v_mov_b32_e32 v19, v15
	v_add_co_u32 v4, s1, s8, v4
	s_wait_alu 0xf1ff
	s_delay_alu instid0(VALU_DEP_3) | instskip(SKIP_3) | instid1(VALU_DEP_2)
	v_add_co_ci_u32_e64 v5, s1, s9, v5, s1
	global_load_b32 v7, v[4:5], off offset:4832
	v_lshlrev_b64_e32 v[4:5], 2, v[18:19]
	v_mov_b32_e32 v18, v15
	v_add_co_u32 v4, s1, s8, v4
	s_wait_alu 0xf1ff
	s_delay_alu instid0(VALU_DEP_3) | instskip(SKIP_2) | instid1(VALU_DEP_1)
	v_add_co_ci_u32_e64 v5, s1, s9, v5, s1
	global_load_b32 v11, v[4:5], off offset:4832
	v_lshlrev_b64_e32 v[4:5], 2, v[17:18]
	v_add_co_u32 v4, s1, s8, v4
	s_wait_alu 0xf1ff
	s_delay_alu instid0(VALU_DEP_2)
	v_add_co_ci_u32_e64 v5, s1, s9, v5, s1
	global_load_b32 v4, v[4:5], off offset:4832
	ds_store_b16 v26, v1 offset:2
	ds_store_b32 v0, v2 offset:4840
	ds_load_b32 v1, v31
	ds_load_b32 v2, v0 offset:4400
	s_wait_dscnt 0x0
	v_pk_add_f16 v3, v1, v2 neg_lo:[0,1] neg_hi:[0,1]
	v_pk_add_f16 v1, v1, v2
	s_delay_alu instid0(VALU_DEP_1) | instskip(SKIP_1) | instid1(VALU_DEP_2)
	v_bfi_b32 v2, 0xffff, v3, v1
	v_bfi_b32 v1, 0xffff, v1, v3
	v_pk_mul_f16 v2, v2, 0.5 op_sel_hi:[1,0]
	s_delay_alu instid0(VALU_DEP_2) | instskip(SKIP_1) | instid1(VALU_DEP_1)
	v_pk_mul_f16 v1, v1, 0.5 op_sel_hi:[1,0]
	s_wait_loadcnt 0x3
	v_pk_fma_f16 v3, v6, v2, v1 op_sel:[1,0,0]
	v_pk_mul_f16 v5, v6, v2 op_sel_hi:[0,1]
	v_pk_fma_f16 v14, v6, v2, v1 op_sel:[1,0,0] neg_lo:[1,0,0] neg_hi:[1,0,0]
	v_pk_fma_f16 v1, v6, v2, v1 op_sel:[1,0,0] neg_lo:[0,0,1] neg_hi:[0,0,1]
	s_delay_alu instid0(VALU_DEP_3) | instskip(SKIP_1) | instid1(VALU_DEP_4)
	v_pk_add_f16 v2, v3, v5 op_sel:[0,1] op_sel_hi:[1,0]
	v_pk_add_f16 v3, v3, v5 op_sel:[0,1] op_sel_hi:[1,0] neg_lo:[0,1] neg_hi:[0,1]
	v_pk_add_f16 v6, v14, v5 op_sel:[0,1] op_sel_hi:[1,0] neg_lo:[0,1] neg_hi:[0,1]
	s_delay_alu instid0(VALU_DEP_4) | instskip(NEXT) | instid1(VALU_DEP_3)
	v_pk_add_f16 v1, v1, v5 op_sel:[0,1] op_sel_hi:[1,0] neg_lo:[0,1] neg_hi:[0,1]
	v_bfi_b32 v2, 0xffff, v2, v3
	s_delay_alu instid0(VALU_DEP_2)
	v_bfi_b32 v1, 0xffff, v6, v1
	ds_store_b32 v31, v2
	ds_store_b32 v0, v1 offset:4400
	ds_load_b32 v1, v30
	ds_load_b32 v2, v0 offset:3960
	s_wait_dscnt 0x0
	v_pk_add_f16 v3, v1, v2 neg_lo:[0,1] neg_hi:[0,1]
	v_pk_add_f16 v1, v1, v2
	s_delay_alu instid0(VALU_DEP_1) | instskip(SKIP_1) | instid1(VALU_DEP_2)
	v_bfi_b32 v2, 0xffff, v3, v1
	v_bfi_b32 v1, 0xffff, v1, v3
	v_pk_mul_f16 v2, v2, 0.5 op_sel_hi:[1,0]
	s_delay_alu instid0(VALU_DEP_2) | instskip(SKIP_1) | instid1(VALU_DEP_2)
	v_pk_mul_f16 v1, v1, 0.5 op_sel_hi:[1,0]
	s_wait_loadcnt 0x2
	v_pk_mul_f16 v5, v7, v2 op_sel_hi:[0,1]
	s_delay_alu instid0(VALU_DEP_2) | instskip(SKIP_2) | instid1(VALU_DEP_3)
	v_pk_fma_f16 v3, v7, v2, v1 op_sel:[1,0,0]
	v_pk_fma_f16 v6, v7, v2, v1 op_sel:[1,0,0] neg_lo:[1,0,0] neg_hi:[1,0,0]
	v_pk_fma_f16 v1, v7, v2, v1 op_sel:[1,0,0] neg_lo:[0,0,1] neg_hi:[0,0,1]
	v_pk_add_f16 v2, v3, v5 op_sel:[0,1] op_sel_hi:[1,0]
	v_pk_add_f16 v3, v3, v5 op_sel:[0,1] op_sel_hi:[1,0] neg_lo:[0,1] neg_hi:[0,1]
	s_delay_alu instid0(VALU_DEP_4) | instskip(NEXT) | instid1(VALU_DEP_4)
	v_pk_add_f16 v6, v6, v5 op_sel:[0,1] op_sel_hi:[1,0] neg_lo:[0,1] neg_hi:[0,1]
	v_pk_add_f16 v1, v1, v5 op_sel:[0,1] op_sel_hi:[1,0] neg_lo:[0,1] neg_hi:[0,1]
	s_delay_alu instid0(VALU_DEP_3) | instskip(NEXT) | instid1(VALU_DEP_2)
	v_bfi_b32 v2, 0xffff, v2, v3
	v_bfi_b32 v1, 0xffff, v6, v1
	ds_store_b32 v30, v2
	ds_store_b32 v0, v1 offset:3960
	ds_load_b32 v1, v29
	ds_load_b32 v2, v0 offset:3520
	s_wait_dscnt 0x0
	v_pk_add_f16 v3, v1, v2 neg_lo:[0,1] neg_hi:[0,1]
	v_pk_add_f16 v1, v1, v2
	s_delay_alu instid0(VALU_DEP_1) | instskip(SKIP_1) | instid1(VALU_DEP_2)
	v_bfi_b32 v2, 0xffff, v3, v1
	v_bfi_b32 v1, 0xffff, v1, v3
	v_pk_mul_f16 v2, v2, 0.5 op_sel_hi:[1,0]
	s_delay_alu instid0(VALU_DEP_2) | instskip(SKIP_1) | instid1(VALU_DEP_2)
	v_pk_mul_f16 v1, v1, 0.5 op_sel_hi:[1,0]
	s_wait_loadcnt 0x1
	v_pk_mul_f16 v5, v11, v2 op_sel_hi:[0,1]
	s_delay_alu instid0(VALU_DEP_2) | instskip(SKIP_2) | instid1(VALU_DEP_3)
	v_pk_fma_f16 v3, v11, v2, v1 op_sel:[1,0,0]
	v_pk_fma_f16 v6, v11, v2, v1 op_sel:[1,0,0] neg_lo:[1,0,0] neg_hi:[1,0,0]
	v_pk_fma_f16 v1, v11, v2, v1 op_sel:[1,0,0] neg_lo:[0,0,1] neg_hi:[0,0,1]
	v_pk_add_f16 v2, v3, v5 op_sel:[0,1] op_sel_hi:[1,0]
	v_pk_add_f16 v3, v3, v5 op_sel:[0,1] op_sel_hi:[1,0] neg_lo:[0,1] neg_hi:[0,1]
	s_delay_alu instid0(VALU_DEP_4) | instskip(NEXT) | instid1(VALU_DEP_4)
	v_pk_add_f16 v6, v6, v5 op_sel:[0,1] op_sel_hi:[1,0] neg_lo:[0,1] neg_hi:[0,1]
	v_pk_add_f16 v1, v1, v5 op_sel:[0,1] op_sel_hi:[1,0] neg_lo:[0,1] neg_hi:[0,1]
	s_delay_alu instid0(VALU_DEP_3) | instskip(NEXT) | instid1(VALU_DEP_2)
	v_bfi_b32 v2, 0xffff, v2, v3
	;; [unrolled: 27-line block ×3, first 2 shown]
	v_bfi_b32 v1, 0xffff, v4, v1
	ds_store_b32 v28, v2
	ds_store_b32 v0, v1 offset:3080
	s_and_saveexec_b32 s1, s0
	s_cbranch_execz .LBB0_25
; %bb.24:
	v_mov_b32_e32 v17, v15
	s_delay_alu instid0(VALU_DEP_1) | instskip(NEXT) | instid1(VALU_DEP_1)
	v_lshlrev_b64_e32 v[1:2], 2, v[16:17]
	v_add_co_u32 v1, s0, s8, v1
	s_wait_alu 0xf1ff
	s_delay_alu instid0(VALU_DEP_2)
	v_add_co_ci_u32_e64 v2, s0, s9, v2, s0
	global_load_b32 v1, v[1:2], off offset:4832
	ds_load_b32 v2, v27
	ds_load_b32 v3, v0 offset:2640
	s_wait_dscnt 0x0
	v_pk_add_f16 v4, v2, v3 neg_lo:[0,1] neg_hi:[0,1]
	v_pk_add_f16 v2, v2, v3
	s_delay_alu instid0(VALU_DEP_1) | instskip(SKIP_1) | instid1(VALU_DEP_2)
	v_bfi_b32 v3, 0xffff, v4, v2
	v_bfi_b32 v2, 0xffff, v2, v4
	v_pk_mul_f16 v3, v3, 0.5 op_sel_hi:[1,0]
	s_delay_alu instid0(VALU_DEP_2) | instskip(SKIP_1) | instid1(VALU_DEP_1)
	v_pk_mul_f16 v2, v2, 0.5 op_sel_hi:[1,0]
	s_wait_loadcnt 0x0
	v_pk_fma_f16 v4, v1, v3, v2 op_sel:[1,0,0]
	v_pk_mul_f16 v5, v1, v3 op_sel_hi:[0,1]
	v_pk_fma_f16 v6, v1, v3, v2 op_sel:[1,0,0] neg_lo:[1,0,0] neg_hi:[1,0,0]
	v_pk_fma_f16 v1, v1, v3, v2 op_sel:[1,0,0] neg_lo:[0,0,1] neg_hi:[0,0,1]
	s_delay_alu instid0(VALU_DEP_3) | instskip(SKIP_1) | instid1(VALU_DEP_4)
	v_pk_add_f16 v2, v4, v5 op_sel:[0,1] op_sel_hi:[1,0]
	v_pk_add_f16 v3, v4, v5 op_sel:[0,1] op_sel_hi:[1,0] neg_lo:[0,1] neg_hi:[0,1]
	v_pk_add_f16 v4, v6, v5 op_sel:[0,1] op_sel_hi:[1,0] neg_lo:[0,1] neg_hi:[0,1]
	s_delay_alu instid0(VALU_DEP_4) | instskip(NEXT) | instid1(VALU_DEP_3)
	v_pk_add_f16 v1, v1, v5 op_sel:[0,1] op_sel_hi:[1,0] neg_lo:[0,1] neg_hi:[0,1]
	v_bfi_b32 v2, 0xffff, v2, v3
	s_delay_alu instid0(VALU_DEP_2)
	v_bfi_b32 v1, 0xffff, v4, v1
	ds_store_b32 v27, v2
	ds_store_b32 v0, v1 offset:2640
.LBB0_25:
	s_wait_alu 0xfffe
	s_or_b32 exec_lo, exec_lo, s1
	global_wb scope:SCOPE_SE
	s_wait_dscnt 0x0
	s_barrier_signal -1
	s_barrier_wait -1
	global_inv scope:SCOPE_SE
	s_and_saveexec_b32 s0, vcc_lo
	s_cbranch_execz .LBB0_28
; %bb.26:
	v_mul_lo_u32 v2, s3, v12
	v_mul_lo_u32 v3, s2, v13
	v_mad_co_u64_u32 v[0:1], null, s2, v12, 0
	v_dual_mov_b32 v11, 0 :: v_dual_add_nc_u32 v4, 0x6e, v10
	v_lshl_add_u32 v36, v10, 2, 0
	v_add_nc_u32_e32 v6, 0xdc, v10
	s_delay_alu instid0(VALU_DEP_3) | instskip(SKIP_4) | instid1(VALU_DEP_4)
	v_dual_mov_b32 v17, v11 :: v_dual_add_nc_u32 v16, 0x1b8, v10
	v_add3_u32 v1, v1, v3, v2
	v_lshlrev_b64_e32 v[2:3], 2, v[8:9]
	v_lshlrev_b64_e32 v[12:13], 2, v[10:11]
	v_dual_mov_b32 v7, v11 :: v_dual_add_nc_u32 v14, 0x200, v36
	v_lshlrev_b64_e32 v[0:1], 2, v[0:1]
	v_dual_mov_b32 v5, v11 :: v_dual_add_nc_u32 v20, 0x600, v36
	v_dual_mov_b32 v19, v11 :: v_dual_add_nc_u32 v18, 0x226, v10
	v_mov_b32_e32 v23, v11
	s_delay_alu instid0(VALU_DEP_4) | instskip(SKIP_3) | instid1(VALU_DEP_3)
	v_add_co_u32 v0, vcc_lo, s6, v0
	s_wait_alu 0xfffd
	v_add_co_ci_u32_e32 v1, vcc_lo, s7, v1, vcc_lo
	v_lshlrev_b64_e32 v[4:5], 2, v[4:5]
	v_add_co_u32 v0, vcc_lo, v0, v2
	s_wait_alu 0xfffd
	s_delay_alu instid0(VALU_DEP_3) | instskip(SKIP_1) | instid1(VALU_DEP_3)
	v_add_co_ci_u32_e32 v1, vcc_lo, v1, v3, vcc_lo
	v_lshlrev_b64_e32 v[2:3], 2, v[6:7]
	v_add_co_u32 v6, vcc_lo, v0, v12
	s_wait_alu 0xfffd
	s_delay_alu instid0(VALU_DEP_3)
	v_add_co_ci_u32_e32 v7, vcc_lo, v1, v13, vcc_lo
	ds_load_2addr_b32 v[12:13], v14 offset0:92 offset1:202
	v_dual_mov_b32 v15, v11 :: v_dual_add_nc_u32 v14, 0x14a, v10
	v_add_co_u32 v4, vcc_lo, v0, v4
	s_wait_alu 0xfffd
	v_add_co_ci_u32_e32 v5, vcc_lo, v1, v5, vcc_lo
	s_delay_alu instid0(VALU_DEP_3)
	v_lshlrev_b64_e32 v[14:15], 2, v[14:15]
	v_add_co_u32 v2, vcc_lo, v0, v2
	v_lshlrev_b64_e32 v[16:17], 2, v[16:17]
	v_dual_mov_b32 v27, v11 :: v_dual_add_nc_u32 v22, 0x294, v10
	s_wait_alu 0xfffd
	v_add_co_ci_u32_e32 v3, vcc_lo, v1, v3, vcc_lo
	v_add_co_u32 v14, vcc_lo, v0, v14
	v_lshlrev_b64_e32 v[18:19], 2, v[18:19]
	v_dual_mov_b32 v31, v11 :: v_dual_add_nc_u32 v26, 0x302, v10
	s_wait_alu 0xfffd
	v_add_co_ci_u32_e32 v15, vcc_lo, v1, v15, vcc_lo
	v_add_co_u32 v16, vcc_lo, v0, v16
	v_lshlrev_b64_e32 v[22:23], 2, v[22:23]
	v_dual_mov_b32 v29, v11 :: v_dual_add_nc_u32 v24, 0xa00, v36
	v_dual_mov_b32 v35, v11 :: v_dual_add_nc_u32 v28, 0x370, v10
	s_wait_alu 0xfffd
	v_add_co_ci_u32_e32 v17, vcc_lo, v1, v17, vcc_lo
	v_add_co_u32 v18, vcc_lo, v0, v18
	v_lshlrev_b64_e32 v[26:27], 2, v[26:27]
	v_add_nc_u32_e32 v30, 0x3de, v10
	s_wait_alu 0xfffd
	v_add_co_ci_u32_e32 v19, vcc_lo, v1, v19, vcc_lo
	ds_load_2addr_b32 v[8:9], v36 offset1:110
	v_add_co_u32 v22, vcc_lo, v0, v22
	v_lshlrev_b64_e32 v[28:29], 2, v[28:29]
	v_add_nc_u32_e32 v34, 0x44c, v10
	s_wait_alu 0xfffd
	v_add_co_ci_u32_e32 v23, vcc_lo, v1, v23, vcc_lo
	v_add_nc_u32_e32 v32, 0xc00, v36
	v_add_co_u32 v26, vcc_lo, v0, v26
	v_lshlrev_b64_e32 v[30:31], 2, v[30:31]
	ds_load_2addr_b32 v[20:21], v20 offset0:56 offset1:166
	s_wait_alu 0xfffd
	v_add_co_ci_u32_e32 v27, vcc_lo, v1, v27, vcc_lo
	ds_load_2addr_b32 v[24:25], v24 offset0:20 offset1:130
	v_add_co_u32 v28, vcc_lo, v0, v28
	v_lshlrev_b64_e32 v[34:35], 2, v[34:35]
	ds_load_2addr_b32 v[32:33], v32 offset0:112 offset1:222
	s_wait_alu 0xfffd
	v_add_co_ci_u32_e32 v29, vcc_lo, v1, v29, vcc_lo
	v_add_co_u32 v30, vcc_lo, v0, v30
	ds_load_b32 v36, v36 offset:4400
	s_wait_alu 0xfffd
	v_add_co_ci_u32_e32 v31, vcc_lo, v1, v31, vcc_lo
	v_add_co_u32 v34, vcc_lo, v0, v34
	s_wait_alu 0xfffd
	v_add_co_ci_u32_e32 v35, vcc_lo, v1, v35, vcc_lo
	v_cmp_eq_u32_e32 vcc_lo, 0x6d, v10
	s_wait_dscnt 0x4
	s_clause 0x3
	global_store_b32 v[6:7], v8, off
	global_store_b32 v[4:5], v9, off
	global_store_b32 v[2:3], v12, off
	global_store_b32 v[14:15], v13, off
	s_wait_dscnt 0x3
	s_clause 0x1
	global_store_b32 v[16:17], v20, off
	global_store_b32 v[18:19], v21, off
	s_wait_dscnt 0x2
	s_clause 0x1
	global_store_b32 v[22:23], v24, off
	global_store_b32 v[26:27], v25, off
	;; [unrolled: 4-line block ×3, first 2 shown]
	s_wait_dscnt 0x0
	global_store_b32 v[34:35], v36, off
	s_and_b32 exec_lo, exec_lo, vcc_lo
	s_cbranch_execz .LBB0_28
; %bb.27:
	ds_load_b32 v2, v11 offset:4840
	s_wait_dscnt 0x0
	global_store_b32 v[0:1], v2, off offset:4840
.LBB0_28:
	s_nop 0
	s_sendmsg sendmsg(MSG_DEALLOC_VGPRS)
	s_endpgm
	.section	.rodata,"a",@progbits
	.p2align	6, 0x0
	.amdhsa_kernel fft_rtc_back_len1210_factors_2_5_11_11_wgs_110_tpt_110_halfLds_half_op_CI_CI_unitstride_sbrr_R2C_dirReg
		.amdhsa_group_segment_fixed_size 0
		.amdhsa_private_segment_fixed_size 0
		.amdhsa_kernarg_size 104
		.amdhsa_user_sgpr_count 2
		.amdhsa_user_sgpr_dispatch_ptr 0
		.amdhsa_user_sgpr_queue_ptr 0
		.amdhsa_user_sgpr_kernarg_segment_ptr 1
		.amdhsa_user_sgpr_dispatch_id 0
		.amdhsa_user_sgpr_private_segment_size 0
		.amdhsa_wavefront_size32 1
		.amdhsa_uses_dynamic_stack 0
		.amdhsa_enable_private_segment 0
		.amdhsa_system_sgpr_workgroup_id_x 1
		.amdhsa_system_sgpr_workgroup_id_y 0
		.amdhsa_system_sgpr_workgroup_id_z 0
		.amdhsa_system_sgpr_workgroup_info 0
		.amdhsa_system_vgpr_workitem_id 0
		.amdhsa_next_free_vgpr 140
		.amdhsa_next_free_sgpr 39
		.amdhsa_reserve_vcc 1
		.amdhsa_float_round_mode_32 0
		.amdhsa_float_round_mode_16_64 0
		.amdhsa_float_denorm_mode_32 3
		.amdhsa_float_denorm_mode_16_64 3
		.amdhsa_fp16_overflow 0
		.amdhsa_workgroup_processor_mode 1
		.amdhsa_memory_ordered 1
		.amdhsa_forward_progress 0
		.amdhsa_round_robin_scheduling 0
		.amdhsa_exception_fp_ieee_invalid_op 0
		.amdhsa_exception_fp_denorm_src 0
		.amdhsa_exception_fp_ieee_div_zero 0
		.amdhsa_exception_fp_ieee_overflow 0
		.amdhsa_exception_fp_ieee_underflow 0
		.amdhsa_exception_fp_ieee_inexact 0
		.amdhsa_exception_int_div_zero 0
	.end_amdhsa_kernel
	.text
.Lfunc_end0:
	.size	fft_rtc_back_len1210_factors_2_5_11_11_wgs_110_tpt_110_halfLds_half_op_CI_CI_unitstride_sbrr_R2C_dirReg, .Lfunc_end0-fft_rtc_back_len1210_factors_2_5_11_11_wgs_110_tpt_110_halfLds_half_op_CI_CI_unitstride_sbrr_R2C_dirReg
                                        ; -- End function
	.section	.AMDGPU.csdata,"",@progbits
; Kernel info:
; codeLenInByte = 11784
; NumSgprs: 41
; NumVgprs: 140
; ScratchSize: 0
; MemoryBound: 0
; FloatMode: 240
; IeeeMode: 1
; LDSByteSize: 0 bytes/workgroup (compile time only)
; SGPRBlocks: 5
; VGPRBlocks: 17
; NumSGPRsForWavesPerEU: 41
; NumVGPRsForWavesPerEU: 140
; Occupancy: 10
; WaveLimiterHint : 1
; COMPUTE_PGM_RSRC2:SCRATCH_EN: 0
; COMPUTE_PGM_RSRC2:USER_SGPR: 2
; COMPUTE_PGM_RSRC2:TRAP_HANDLER: 0
; COMPUTE_PGM_RSRC2:TGID_X_EN: 1
; COMPUTE_PGM_RSRC2:TGID_Y_EN: 0
; COMPUTE_PGM_RSRC2:TGID_Z_EN: 0
; COMPUTE_PGM_RSRC2:TIDIG_COMP_CNT: 0
	.text
	.p2alignl 7, 3214868480
	.fill 96, 4, 3214868480
	.type	__hip_cuid_d548e39a0bfc8d24,@object ; @__hip_cuid_d548e39a0bfc8d24
	.section	.bss,"aw",@nobits
	.globl	__hip_cuid_d548e39a0bfc8d24
__hip_cuid_d548e39a0bfc8d24:
	.byte	0                               ; 0x0
	.size	__hip_cuid_d548e39a0bfc8d24, 1

	.ident	"AMD clang version 19.0.0git (https://github.com/RadeonOpenCompute/llvm-project roc-6.4.0 25133 c7fe45cf4b819c5991fe208aaa96edf142730f1d)"
	.section	".note.GNU-stack","",@progbits
	.addrsig
	.addrsig_sym __hip_cuid_d548e39a0bfc8d24
	.amdgpu_metadata
---
amdhsa.kernels:
  - .args:
      - .actual_access:  read_only
        .address_space:  global
        .offset:         0
        .size:           8
        .value_kind:     global_buffer
      - .offset:         8
        .size:           8
        .value_kind:     by_value
      - .actual_access:  read_only
        .address_space:  global
        .offset:         16
        .size:           8
        .value_kind:     global_buffer
      - .actual_access:  read_only
        .address_space:  global
        .offset:         24
        .size:           8
        .value_kind:     global_buffer
      - .actual_access:  read_only
        .address_space:  global
        .offset:         32
        .size:           8
        .value_kind:     global_buffer
      - .offset:         40
        .size:           8
        .value_kind:     by_value
      - .actual_access:  read_only
        .address_space:  global
        .offset:         48
        .size:           8
        .value_kind:     global_buffer
      - .actual_access:  read_only
        .address_space:  global
        .offset:         56
        .size:           8
        .value_kind:     global_buffer
      - .offset:         64
        .size:           4
        .value_kind:     by_value
      - .actual_access:  read_only
        .address_space:  global
        .offset:         72
        .size:           8
        .value_kind:     global_buffer
      - .actual_access:  read_only
        .address_space:  global
        .offset:         80
        .size:           8
        .value_kind:     global_buffer
      - .actual_access:  read_only
        .address_space:  global
        .offset:         88
        .size:           8
        .value_kind:     global_buffer
      - .actual_access:  write_only
        .address_space:  global
        .offset:         96
        .size:           8
        .value_kind:     global_buffer
    .group_segment_fixed_size: 0
    .kernarg_segment_align: 8
    .kernarg_segment_size: 104
    .language:       OpenCL C
    .language_version:
      - 2
      - 0
    .max_flat_workgroup_size: 110
    .name:           fft_rtc_back_len1210_factors_2_5_11_11_wgs_110_tpt_110_halfLds_half_op_CI_CI_unitstride_sbrr_R2C_dirReg
    .private_segment_fixed_size: 0
    .sgpr_count:     41
    .sgpr_spill_count: 0
    .symbol:         fft_rtc_back_len1210_factors_2_5_11_11_wgs_110_tpt_110_halfLds_half_op_CI_CI_unitstride_sbrr_R2C_dirReg.kd
    .uniform_work_group_size: 1
    .uses_dynamic_stack: false
    .vgpr_count:     140
    .vgpr_spill_count: 0
    .wavefront_size: 32
    .workgroup_processor_mode: 1
amdhsa.target:   amdgcn-amd-amdhsa--gfx1201
amdhsa.version:
  - 1
  - 2
...

	.end_amdgpu_metadata
